;; amdgpu-corpus repo=triton-lang/triton kind=triton arch=gfx1201 opt=O3 lang=triton
	.amdgcn_target "amdgcn-amd-amdhsa--gfx1201"
	.amdhsa_code_object_version 5
	.text
	.globl	vecadd_kernel                   ; -- Begin function vecadd_kernel
	.p2align	8
	.type	vecadd_kernel,@function
vecadd_kernel:                          ; @vecadd_kernel
.Lfunc_begin0:
	.file	1 "/root/src/amdgpu-assembly/repos/triton-lang__triton-aot" "vecadd_pipelined.py"
	.loc	1 8 0                           ; vecadd_pipelined.py:8:0
	.cfi_sections .debug_frame
	.cfi_startproc
; %bb.0:
	s_clause 0x1
	s_load_b64 s[2:3], s[0:1], 0x18
	s_load_b64 s[4:5], s[0:1], 0x0
.Ltmp0:
	.loc	1 11 41 prologue_end            ; vecadd_pipelined.py:11:41
	s_bfe_u32 s6, ttmp8, 0x50019
	v_dual_mov_b32 v16, 0 :: v_dual_and_b32 v25, 31, v0
	s_lshl_b32 s6, s6, 5
	v_mov_b32_e32 v11, 0
	s_and_b32 s17, s6, 0x60
	.loc	1 10 37                         ; vecadd_pipelined.py:10:37
	s_wait_kmcnt 0x0
	s_mul_i32 s7, ttmp9, s3
	s_delay_alu instid0(SALU_CYCLE_1) | instskip(SKIP_3) | instid1(VALU_DEP_1)
	s_lshl_b32 s18, s7, 10
	.loc	1 12 37                         ; vecadd_pipelined.py:12:37
	s_cmp_gt_i32 s3, 0
	.loc	1 11 28                         ; vecadd_pipelined.py:11:28
	v_or3_b32 v30, s17, v25, s18
	.loc	1 12 37                         ; vecadd_pipelined.py:12:37
	s_cselect_b32 s8, -1, 0
	.loc	1 14 28                         ; vecadd_pipelined.py:14:28
	v_ashrrev_i32_e32 v10, 31, v30
	.loc	1 13 25                         ; vecadd_pipelined.py:13:25
	v_cmp_gt_i32_e64 s16, s2, v30
	.loc	1 14 28                         ; vecadd_pipelined.py:14:28
	v_add_co_u32 v0, vcc_lo, s4, v30
	s_delay_alu instid0(VALU_DEP_1)
	v_add_co_ci_u32_e64 v1, null, s5, v10, vcc_lo
	.loc	1 12 37                         ; vecadd_pipelined.py:12:37
	s_and_b32 s19, s8, s16
	.loc	1 14 20                         ; vecadd_pipelined.py:14:20
	s_wait_alu depctr_sa_sdst(0)
	s_and_saveexec_b32 s6, s19
	s_cbranch_execz .LBB0_2
; %bb.1:
	global_load_u8 v16, v[0:1], off
.LBB0_2:
	.loc	1 0 20 is_stmt 0                ; vecadd_pipelined.py:0:20
	s_or_b32 exec_lo, exec_lo, s6
	.loc	1 11 28 is_stmt 1               ; vecadd_pipelined.py:11:28
	v_or_b32_e32 v3, 0x80, v30
	s_delay_alu instid0(VALU_DEP_1) | instskip(SKIP_1) | instid1(SALU_CYCLE_1)
	.loc	1 13 25                         ; vecadd_pipelined.py:13:25
	v_cmp_gt_i32_e64 s15, s2, v3
	.loc	1 12 37                         ; vecadd_pipelined.py:12:37
	s_and_b32 s20, s15, s8
	.loc	1 14 20                         ; vecadd_pipelined.py:14:20
	s_and_saveexec_b32 s6, s20
	s_cbranch_execz .LBB0_4
; %bb.3:
	global_load_u8 v11, v[0:1], off offset:128
.LBB0_4:
	.loc	1 0 20 is_stmt 0                ; vecadd_pipelined.py:0:20
	s_or_b32 exec_lo, exec_lo, s6
	.loc	1 11 28 is_stmt 1               ; vecadd_pipelined.py:11:28
	v_or_b32_e32 v6, 0x100, v30
	v_dual_mov_b32 v8, 0 :: v_dual_mov_b32 v13, 0
	s_delay_alu instid0(VALU_DEP_2) | instskip(SKIP_1) | instid1(SALU_CYCLE_1)
	.loc	1 13 25                         ; vecadd_pipelined.py:13:25
	v_cmp_gt_i32_e64 s14, s2, v6
	.loc	1 12 37                         ; vecadd_pipelined.py:12:37
	s_and_b32 s21, s14, s8
	.loc	1 14 20                         ; vecadd_pipelined.py:14:20
	s_and_saveexec_b32 s6, s21
	s_cbranch_execz .LBB0_6
; %bb.5:
	global_load_u8 v13, v[0:1], off offset:256
.LBB0_6:
	.loc	1 0 20 is_stmt 0                ; vecadd_pipelined.py:0:20
	s_or_b32 exec_lo, exec_lo, s6
	.loc	1 11 28 is_stmt 1               ; vecadd_pipelined.py:11:28
	v_or_b32_e32 v9, 0x180, v30
	s_delay_alu instid0(VALU_DEP_1) | instskip(SKIP_1) | instid1(SALU_CYCLE_1)
	.loc	1 13 25                         ; vecadd_pipelined.py:13:25
	v_cmp_gt_i32_e64 s12, s2, v9
	.loc	1 12 37                         ; vecadd_pipelined.py:12:37
	s_and_b32 s22, s12, s8
	.loc	1 14 20                         ; vecadd_pipelined.py:14:20
	s_and_saveexec_b32 s6, s22
	s_cbranch_execz .LBB0_8
; %bb.7:
	global_load_u8 v8, v[0:1], off offset:384
.LBB0_8:
	.loc	1 0 20 is_stmt 0                ; vecadd_pipelined.py:0:20
	s_or_b32 exec_lo, exec_lo, s6
	.loc	1 11 28 is_stmt 1               ; vecadd_pipelined.py:11:28
	v_or_b32_e32 v12, 0x200, v30
	v_mov_b32_e32 v5, 0
	v_mov_b32_e32 v7, 0
	s_delay_alu instid0(VALU_DEP_3) | instskip(SKIP_1) | instid1(SALU_CYCLE_1)
	.loc	1 13 25                         ; vecadd_pipelined.py:13:25
	v_cmp_gt_i32_e64 s9, s2, v12
	.loc	1 12 37                         ; vecadd_pipelined.py:12:37
	s_and_b32 s23, s9, s8
	.loc	1 14 20                         ; vecadd_pipelined.py:14:20
	s_and_saveexec_b32 s6, s23
	s_cbranch_execz .LBB0_10
; %bb.9:
	global_load_u8 v7, v[0:1], off offset:512
.LBB0_10:
	.loc	1 0 20 is_stmt 0                ; vecadd_pipelined.py:0:20
	s_or_b32 exec_lo, exec_lo, s6
	.loc	1 11 28 is_stmt 1               ; vecadd_pipelined.py:11:28
	v_or_b32_e32 v15, 0x280, v30
	s_delay_alu instid0(VALU_DEP_1) | instskip(SKIP_1) | instid1(SALU_CYCLE_1)
	.loc	1 13 25                         ; vecadd_pipelined.py:13:25
	v_cmp_gt_i32_e64 s13, s2, v15
	.loc	1 12 37                         ; vecadd_pipelined.py:12:37
	s_and_b32 s24, s13, s8
	.loc	1 14 20                         ; vecadd_pipelined.py:14:20
	s_and_saveexec_b32 s6, s24
	s_cbranch_execz .LBB0_12
; %bb.11:
	global_load_u8 v5, v[0:1], off offset:640
.LBB0_12:
	.loc	1 0 20 is_stmt 0                ; vecadd_pipelined.py:0:20
	s_or_b32 exec_lo, exec_lo, s6
	s_load_b64 s[6:7], s[0:1], 0x8
	.loc	1 11 28 is_stmt 1               ; vecadd_pipelined.py:11:28
	v_or_b32_e32 v18, 0x300, v30
	v_mov_b32_e32 v2, 0
	v_mov_b32_e32 v4, 0
	s_delay_alu instid0(VALU_DEP_3) | instskip(SKIP_1) | instid1(SALU_CYCLE_1)
	.loc	1 13 25                         ; vecadd_pipelined.py:13:25
	v_cmp_gt_i32_e64 s11, s2, v18
	.loc	1 12 37                         ; vecadd_pipelined.py:12:37
	s_and_b32 s25, s11, s8
	.loc	1 14 20                         ; vecadd_pipelined.py:14:20
	s_and_saveexec_b32 s10, s25
	s_cbranch_execz .LBB0_14
; %bb.13:
	global_load_u8 v4, v[0:1], off offset:768
.LBB0_14:
	.loc	1 0 20 is_stmt 0                ; vecadd_pipelined.py:0:20
	s_or_b32 exec_lo, exec_lo, s10
	.loc	1 11 28 is_stmt 1               ; vecadd_pipelined.py:11:28
	v_or_b32_e32 v21, 0x380, v30
	s_delay_alu instid0(VALU_DEP_1) | instskip(SKIP_1) | instid1(SALU_CYCLE_1)
	.loc	1 13 25                         ; vecadd_pipelined.py:13:25
	v_cmp_gt_i32_e64 s10, s2, v21
	.loc	1 12 37                         ; vecadd_pipelined.py:12:37
	s_and_b32 s26, s10, s8
	.loc	1 14 20                         ; vecadd_pipelined.py:14:20
	s_and_saveexec_b32 s27, s26
	s_cbranch_execz .LBB0_16
; %bb.15:
	global_load_u8 v2, v[0:1], off offset:896
.LBB0_16:
	.loc	1 0 20 is_stmt 0                ; vecadd_pipelined.py:0:20
	s_or_b32 exec_lo, exec_lo, s27
	.loc	1 15 28 is_stmt 1               ; vecadd_pipelined.py:15:28
	s_wait_kmcnt 0x0
	v_add_co_u32 v0, vcc_lo, s6, v30
	s_wait_alu depctr_va_vcc(0)
	v_add_co_ci_u32_e64 v1, null, s7, v10, vcc_lo
	v_dual_mov_b32 v23, 0 :: v_dual_mov_b32 v24, 0
	.loc	1 15 20 is_stmt 0               ; vecadd_pipelined.py:15:20
	s_and_saveexec_b32 s27, s19
	s_cbranch_execz .LBB0_18
; %bb.17:
	global_load_u8 v24, v[0:1], off
.LBB0_18:
	.loc	1 0 20                          ; vecadd_pipelined.py:0:20
	s_or_b32 exec_lo, exec_lo, s27
	.loc	1 15 20                         ; vecadd_pipelined.py:15:20
	s_and_saveexec_b32 s19, s20
	s_cbranch_execz .LBB0_20
; %bb.19:
	global_load_u8 v23, v[0:1], off offset:128
.LBB0_20:
	.loc	1 0 20                          ; vecadd_pipelined.py:0:20
	s_wait_alu depctr_sa_sdst(0)
	s_or_b32 exec_lo, exec_lo, s19
	v_mov_b32_e32 v20, 0
	v_mov_b32_e32 v22, 0
	.loc	1 15 20                         ; vecadd_pipelined.py:15:20
	s_and_saveexec_b32 s19, s21
	s_cbranch_execz .LBB0_22
; %bb.21:
	global_load_u8 v22, v[0:1], off offset:256
.LBB0_22:
	.loc	1 0 20                          ; vecadd_pipelined.py:0:20
	s_wait_alu depctr_sa_sdst(0)
	s_or_b32 exec_lo, exec_lo, s19
	.loc	1 15 20                         ; vecadd_pipelined.py:15:20
	s_and_saveexec_b32 s19, s22
	s_cbranch_execz .LBB0_24
; %bb.23:
	global_load_u8 v20, v[0:1], off offset:384
.LBB0_24:
	.loc	1 0 20                          ; vecadd_pipelined.py:0:20
	s_wait_alu depctr_sa_sdst(0)
	s_or_b32 exec_lo, exec_lo, s19
	v_mov_b32_e32 v17, 0
	v_mov_b32_e32 v19, 0
	.loc	1 15 20                         ; vecadd_pipelined.py:15:20
	s_and_saveexec_b32 s19, s23
	s_cbranch_execz .LBB0_26
; %bb.25:
	global_load_u8 v19, v[0:1], off offset:512
.LBB0_26:
	.loc	1 0 20                          ; vecadd_pipelined.py:0:20
	s_wait_alu depctr_sa_sdst(0)
	s_or_b32 exec_lo, exec_lo, s19
	.loc	1 15 20                         ; vecadd_pipelined.py:15:20
	s_and_saveexec_b32 s19, s24
	s_cbranch_execz .LBB0_28
; %bb.27:
	global_load_u8 v17, v[0:1], off offset:640
.LBB0_28:
	.loc	1 0 20                          ; vecadd_pipelined.py:0:20
	s_wait_alu depctr_sa_sdst(0)
	s_or_b32 exec_lo, exec_lo, s19
	v_mov_b32_e32 v10, 0
	v_mov_b32_e32 v14, 0
	.loc	1 15 20                         ; vecadd_pipelined.py:15:20
	s_and_saveexec_b32 s19, s25
	s_cbranch_execnz .LBB0_91
; %bb.29:
	.loc	1 0 20                          ; vecadd_pipelined.py:0:20
	s_wait_alu depctr_sa_sdst(0)
	s_or_b32 exec_lo, exec_lo, s19
	s_load_b64 s[0:1], s[0:1], 0x10
	.loc	1 15 20                         ; vecadd_pipelined.py:15:20
	s_and_saveexec_b32 s19, s26
	s_cbranch_execnz .LBB0_92
.LBB0_30:
	.loc	1 0 20                          ; vecadd_pipelined.py:0:20
	s_wait_alu depctr_sa_sdst(0)
	s_or_b32 exec_lo, exec_lo, s19
	.loc	1 12 37 is_stmt 1               ; vecadd_pipelined.py:12:37
	s_add_co_i32 s3, s3, -1
	s_wait_alu depctr_sa_sdst(0)
	s_cmp_lt_i32 s3, 1
	s_cbranch_scc1 .LBB0_93
.LBB0_31:                               ; %.lr.ph.preheader
	.loc	1 14 20                         ; vecadd_pipelined.py:14:20
	s_add_co_i32 s18, s18, s17
	s_wait_alu depctr_sa_sdst(0)
	v_add3_u32 v30, s18, v25, 0x780
	s_branch .LBB0_33
.LBB0_32:                               ;   in Loop: Header=BB0_33 Depth=1
	.loc	1 0 20 is_stmt 0                ; vecadd_pipelined.py:0:20
	s_or_b32 exec_lo, exec_lo, s9
	s_wait_loadcnt 0x0
	v_dual_mov_b32 v17, v44 :: v_dual_add_nc_u32 v30, 0x400, v21
	v_dual_mov_b32 v10, v46 :: v_dual_mov_b32 v19, v43
	v_dual_mov_b32 v14, v45 :: v_dual_mov_b32 v23, v40
	;; [unrolled: 1-line block ×6, first 2 shown]
	v_mov_b32_e32 v4, v38
	v_mov_b32_e32 v8, v33
	;; [unrolled: 1-line block ×3, first 2 shown]
	.loc	1 12 37 is_stmt 1               ; vecadd_pipelined.py:12:37
	s_add_co_i32 s3, s3, -1
	s_mov_b32 s16, s17
	s_wait_alu depctr_sa_sdst(0)
	s_cmp_lg_u32 s3, 0
	s_mov_b32 s15, s18
	s_mov_b32 s14, s19
	;; [unrolled: 1-line block ×7, first 2 shown]
	s_cbranch_scc0 .LBB0_81
.LBB0_33:                               ; %.lr.ph
                                        ; =>This Inner Loop Header: Depth=1
	.loc	1 0 37 is_stmt 0                ; vecadd_pipelined.py:0:37
	s_delay_alu instid0(VALU_DEP_1) | instskip(SKIP_1) | instid1(VALU_DEP_2)
	v_dual_mov_b32 v32, 0 :: v_dual_add_nc_u32 v41, 0xfffffc80, v30
	v_mov_b32_e32 v31, 0
	.loc	1 13 25 is_stmt 1               ; vecadd_pipelined.py:13:25
	v_cmp_gt_i32_e64 s17, s2, v41
	v_ashrrev_i32_e32 v42, 31, v41
	.loc	1 14 20                         ; vecadd_pipelined.py:14:20
	s_and_saveexec_b32 s18, s17
	s_cbranch_execz .LBB0_35
; %bb.34:                               ;   in Loop: Header=BB0_33 Depth=1
	.loc	1 0 20 is_stmt 0                ; vecadd_pipelined.py:0:20
	v_add_co_u32 v0, vcc_lo, s4, v41
	s_wait_alu depctr_va_vcc(0)
	v_add_co_ci_u32_e64 v1, null, s5, v42, vcc_lo
	.loc	1 14 20                         ; vecadd_pipelined.py:14:20
	global_load_u8 v32, v[0:1], off
.LBB0_35:                               ;   in Loop: Header=BB0_33 Depth=1
	.loc	1 0 20                          ; vecadd_pipelined.py:0:20
	s_wait_alu depctr_sa_sdst(0)
	s_or_b32 exec_lo, exec_lo, s18
	.loc	1 18 19 is_stmt 1               ; vecadd_pipelined.py:18:19
	v_add_nc_u32_e32 v3, 0xfffffd00, v30
	s_delay_alu instid0(VALU_DEP_1)
	.loc	1 13 25                         ; vecadd_pipelined.py:13:25
	v_cmp_gt_i32_e64 s18, s2, v3
	.loc	1 14 28                         ; vecadd_pipelined.py:14:28
	v_ashrrev_i32_e32 v0, 31, v3
	.loc	1 14 20 is_stmt 0               ; vecadd_pipelined.py:14:20
	s_and_saveexec_b32 s19, s18
	s_cbranch_execz .LBB0_37
; %bb.36:                               ;   in Loop: Header=BB0_33 Depth=1
	.loc	1 14 28                         ; vecadd_pipelined.py:14:28
	v_add_co_u32 v25, vcc_lo, s4, v3
	s_wait_alu depctr_va_vcc(0)
	v_add_co_ci_u32_e64 v26, null, s5, v0, vcc_lo
	.loc	1 14 20                         ; vecadd_pipelined.py:14:20
	global_load_u8 v31, v[25:26], off
.LBB0_37:                               ;   in Loop: Header=BB0_33 Depth=1
	.loc	1 0 20                          ; vecadd_pipelined.py:0:20
	s_wait_alu depctr_sa_sdst(0)
	s_or_b32 exec_lo, exec_lo, s19
	v_dual_mov_b32 v33, 0 :: v_dual_add_nc_u32 v6, 0xfffffd80, v30
	v_mov_b32_e32 v34, 0
	s_delay_alu instid0(VALU_DEP_2)
	.loc	1 13 25 is_stmt 1               ; vecadd_pipelined.py:13:25
	v_cmp_gt_i32_e64 s19, s2, v6
	.loc	1 14 28                         ; vecadd_pipelined.py:14:28
	v_ashrrev_i32_e32 v1, 31, v6
	.loc	1 14 20 is_stmt 0               ; vecadd_pipelined.py:14:20
	s_and_saveexec_b32 s20, s19
	s_cbranch_execz .LBB0_39
; %bb.38:                               ;   in Loop: Header=BB0_33 Depth=1
	.loc	1 14 28                         ; vecadd_pipelined.py:14:28
	v_add_co_u32 v25, vcc_lo, s4, v6
	s_wait_alu depctr_va_vcc(0)
	v_add_co_ci_u32_e64 v26, null, s5, v1, vcc_lo
	.loc	1 14 20                         ; vecadd_pipelined.py:14:20
	global_load_u8 v34, v[25:26], off
.LBB0_39:                               ;   in Loop: Header=BB0_33 Depth=1
	.loc	1 0 20                          ; vecadd_pipelined.py:0:20
	s_or_b32 exec_lo, exec_lo, s20
	.loc	1 18 19 is_stmt 1               ; vecadd_pipelined.py:18:19
	v_add_nc_u32_e32 v9, 0xfffffe00, v30
	s_delay_alu instid0(VALU_DEP_1)
	.loc	1 13 25                         ; vecadd_pipelined.py:13:25
	v_cmp_gt_i32_e64 s20, s2, v9
	.loc	1 14 28                         ; vecadd_pipelined.py:14:28
	v_ashrrev_i32_e32 v25, 31, v9
	.loc	1 14 20 is_stmt 0               ; vecadd_pipelined.py:14:20
	s_and_saveexec_b32 s21, s20
	s_cbranch_execz .LBB0_41
; %bb.40:                               ;   in Loop: Header=BB0_33 Depth=1
	.loc	1 14 28                         ; vecadd_pipelined.py:14:28
	v_add_co_u32 v26, vcc_lo, s4, v9
	s_wait_alu depctr_va_vcc(0)
	v_add_co_ci_u32_e64 v27, null, s5, v25, vcc_lo
	.loc	1 14 20                         ; vecadd_pipelined.py:14:20
	global_load_u8 v33, v[26:27], off
.LBB0_41:                               ;   in Loop: Header=BB0_33 Depth=1
	.loc	1 0 20                          ; vecadd_pipelined.py:0:20
	s_or_b32 exec_lo, exec_lo, s21
	v_dual_mov_b32 v35, 0 :: v_dual_add_nc_u32 v12, 0xfffffe80, v30
	v_mov_b32_e32 v36, 0
	s_delay_alu instid0(VALU_DEP_2)
	.loc	1 13 25 is_stmt 1               ; vecadd_pipelined.py:13:25
	v_cmp_gt_i32_e64 s22, s2, v12
	.loc	1 14 28                         ; vecadd_pipelined.py:14:28
	v_ashrrev_i32_e32 v26, 31, v12
	.loc	1 14 20 is_stmt 0               ; vecadd_pipelined.py:14:20
	s_and_saveexec_b32 s21, s22
	s_cbranch_execz .LBB0_43
; %bb.42:                               ;   in Loop: Header=BB0_33 Depth=1
	.loc	1 14 28                         ; vecadd_pipelined.py:14:28
	v_add_co_u32 v27, vcc_lo, s4, v12
	s_wait_alu depctr_va_vcc(0)
	v_add_co_ci_u32_e64 v28, null, s5, v26, vcc_lo
	.loc	1 14 20                         ; vecadd_pipelined.py:14:20
	global_load_u8 v36, v[27:28], off
.LBB0_43:                               ;   in Loop: Header=BB0_33 Depth=1
	.loc	1 0 20                          ; vecadd_pipelined.py:0:20
	s_or_b32 exec_lo, exec_lo, s21
	.loc	1 18 19 is_stmt 1               ; vecadd_pipelined.py:18:19
	v_add_nc_u32_e32 v15, 0xffffff00, v30
	s_delay_alu instid0(VALU_DEP_1)
	.loc	1 13 25                         ; vecadd_pipelined.py:13:25
	v_cmp_gt_i32_e64 s21, s2, v15
	.loc	1 14 28                         ; vecadd_pipelined.py:14:28
	v_ashrrev_i32_e32 v27, 31, v15
	.loc	1 14 20 is_stmt 0               ; vecadd_pipelined.py:14:20
	s_and_saveexec_b32 s23, s21
	s_cbranch_execz .LBB0_45
; %bb.44:                               ;   in Loop: Header=BB0_33 Depth=1
	.loc	1 14 28                         ; vecadd_pipelined.py:14:28
	v_add_co_u32 v28, vcc_lo, s4, v15
	s_wait_alu depctr_va_vcc(0)
	v_add_co_ci_u32_e64 v29, null, s5, v27, vcc_lo
	.loc	1 14 20                         ; vecadd_pipelined.py:14:20
	global_load_u8 v35, v[28:29], off
.LBB0_45:                               ;   in Loop: Header=BB0_33 Depth=1
	.loc	1 0 20                          ; vecadd_pipelined.py:0:20
	s_or_b32 exec_lo, exec_lo, s23
	v_dual_mov_b32 v37, 0 :: v_dual_add_nc_u32 v18, 0xffffff80, v30
	v_mov_b32_e32 v38, 0
	s_delay_alu instid0(VALU_DEP_2)
	.loc	1 13 25 is_stmt 1               ; vecadd_pipelined.py:13:25
	v_cmp_gt_i32_e64 s23, s2, v18
	.loc	1 14 28                         ; vecadd_pipelined.py:14:28
	v_ashrrev_i32_e32 v28, 31, v18
	.loc	1 14 20 is_stmt 0               ; vecadd_pipelined.py:14:20
	s_and_saveexec_b32 s24, s23
	s_cbranch_execz .LBB0_47
; %bb.46:                               ;   in Loop: Header=BB0_33 Depth=1
	.loc	1 14 28                         ; vecadd_pipelined.py:14:28
	v_add_co_u32 v38, vcc_lo, s4, v18
	s_wait_alu depctr_va_vcc(0)
	v_add_co_ci_u32_e64 v39, null, s5, v28, vcc_lo
	.loc	1 14 20                         ; vecadd_pipelined.py:14:20
	global_load_u8 v38, v[38:39], off
.LBB0_47:                               ;   in Loop: Header=BB0_33 Depth=1
	.loc	1 0 20                          ; vecadd_pipelined.py:0:20
	s_or_b32 exec_lo, exec_lo, s24
	.loc	1 13 25 is_stmt 1               ; vecadd_pipelined.py:13:25
	v_cmp_gt_i32_e64 s24, s2, v30
	.loc	1 14 28                         ; vecadd_pipelined.py:14:28
	v_ashrrev_i32_e32 v29, 31, v30
	v_mov_b32_e32 v21, v30
	.loc	1 14 20 is_stmt 0               ; vecadd_pipelined.py:14:20
	s_and_saveexec_b32 s25, s24
	s_cbranch_execz .LBB0_49
; %bb.48:                               ;   in Loop: Header=BB0_33 Depth=1
	.loc	1 0 20                          ; vecadd_pipelined.py:0:20
	s_delay_alu instid0(VALU_DEP_1)
	.loc	1 14 28                         ; vecadd_pipelined.py:14:28
	v_add_co_u32 v39, vcc_lo, s4, v21
	s_wait_alu depctr_va_vcc(0)
	v_add_co_ci_u32_e64 v40, null, s5, v29, vcc_lo
	.loc	1 14 20                         ; vecadd_pipelined.py:14:20
	global_load_u8 v37, v[39:40], off
.LBB0_49:                               ;   in Loop: Header=BB0_33 Depth=1
	.loc	1 0 20                          ; vecadd_pipelined.py:0:20
	s_or_b32 exec_lo, exec_lo, s25
	v_dual_mov_b32 v40, 0 :: v_dual_mov_b32 v39, 0
	.loc	1 15 20 is_stmt 1               ; vecadd_pipelined.py:15:20
	s_and_saveexec_b32 s25, s17
	s_cbranch_execz .LBB0_51
; %bb.50:                               ;   in Loop: Header=BB0_33 Depth=1
	.loc	1 0 20 is_stmt 0                ; vecadd_pipelined.py:0:20
	v_add_co_u32 v41, vcc_lo, s6, v41
	s_wait_alu depctr_va_vcc(0)
	v_add_co_ci_u32_e64 v42, null, s7, v42, vcc_lo
	.loc	1 15 20                         ; vecadd_pipelined.py:15:20
	global_load_u8 v39, v[41:42], off
.LBB0_51:                               ;   in Loop: Header=BB0_33 Depth=1
	.loc	1 0 20                          ; vecadd_pipelined.py:0:20
	s_or_b32 exec_lo, exec_lo, s25
	.loc	1 15 20                         ; vecadd_pipelined.py:15:20
	s_and_saveexec_b32 s25, s18
	s_cbranch_execz .LBB0_53
; %bb.52:                               ;   in Loop: Header=BB0_33 Depth=1
	.loc	1 15 28                         ; vecadd_pipelined.py:15:28
	v_add_co_u32 v40, vcc_lo, s6, v3
	s_wait_alu depctr_va_vcc(0)
	v_add_co_ci_u32_e64 v41, null, s7, v0, vcc_lo
	.loc	1 15 20                         ; vecadd_pipelined.py:15:20
	global_load_u8 v40, v[40:41], off
.LBB0_53:                               ;   in Loop: Header=BB0_33 Depth=1
	.loc	1 0 20                          ; vecadd_pipelined.py:0:20
	s_or_b32 exec_lo, exec_lo, s25
	v_dual_mov_b32 v42, 0 :: v_dual_mov_b32 v41, 0
	.loc	1 15 20                         ; vecadd_pipelined.py:15:20
	s_and_saveexec_b32 s25, s19
	s_cbranch_execz .LBB0_55
; %bb.54:                               ;   in Loop: Header=BB0_33 Depth=1
	.loc	1 15 28                         ; vecadd_pipelined.py:15:28
	v_add_co_u32 v43, vcc_lo, s6, v6
	s_wait_alu depctr_va_vcc(0)
	v_add_co_ci_u32_e64 v44, null, s7, v1, vcc_lo
	.loc	1 15 20                         ; vecadd_pipelined.py:15:20
	global_load_u8 v41, v[43:44], off
.LBB0_55:                               ;   in Loop: Header=BB0_33 Depth=1
	.loc	1 0 20                          ; vecadd_pipelined.py:0:20
	s_or_b32 exec_lo, exec_lo, s25
	.loc	1 15 20                         ; vecadd_pipelined.py:15:20
	s_and_saveexec_b32 s25, s20
	s_cbranch_execz .LBB0_57
; %bb.56:                               ;   in Loop: Header=BB0_33 Depth=1
	.loc	1 15 28                         ; vecadd_pipelined.py:15:28
	v_add_co_u32 v42, vcc_lo, s6, v9
	s_wait_alu depctr_va_vcc(0)
	v_add_co_ci_u32_e64 v43, null, s7, v25, vcc_lo
	.loc	1 15 20                         ; vecadd_pipelined.py:15:20
	global_load_u8 v42, v[42:43], off
.LBB0_57:                               ;   in Loop: Header=BB0_33 Depth=1
	.loc	1 0 20                          ; vecadd_pipelined.py:0:20
	s_or_b32 exec_lo, exec_lo, s25
	v_dual_mov_b32 v44, 0 :: v_dual_mov_b32 v43, 0
	.loc	1 15 20                         ; vecadd_pipelined.py:15:20
	s_and_saveexec_b32 s25, s22
	s_cbranch_execz .LBB0_59
; %bb.58:                               ;   in Loop: Header=BB0_33 Depth=1
	.loc	1 15 28                         ; vecadd_pipelined.py:15:28
	v_add_co_u32 v45, vcc_lo, s6, v12
	s_wait_alu depctr_va_vcc(0)
	v_add_co_ci_u32_e64 v46, null, s7, v26, vcc_lo
	.loc	1 15 20                         ; vecadd_pipelined.py:15:20
	global_load_u8 v43, v[45:46], off
.LBB0_59:                               ;   in Loop: Header=BB0_33 Depth=1
	.loc	1 0 20                          ; vecadd_pipelined.py:0:20
	s_or_b32 exec_lo, exec_lo, s25
	.loc	1 15 20                         ; vecadd_pipelined.py:15:20
	s_and_saveexec_b32 s25, s21
	s_cbranch_execz .LBB0_61
; %bb.60:                               ;   in Loop: Header=BB0_33 Depth=1
	.loc	1 15 28                         ; vecadd_pipelined.py:15:28
	v_add_co_u32 v44, vcc_lo, s6, v15
	s_wait_alu depctr_va_vcc(0)
	v_add_co_ci_u32_e64 v45, null, s7, v27, vcc_lo
	.loc	1 15 20                         ; vecadd_pipelined.py:15:20
	global_load_u8 v44, v[44:45], off
.LBB0_61:                               ;   in Loop: Header=BB0_33 Depth=1
	.loc	1 0 20                          ; vecadd_pipelined.py:0:20
	s_or_b32 exec_lo, exec_lo, s25
	v_dual_mov_b32 v46, 0 :: v_dual_mov_b32 v45, 0
	.loc	1 15 20                         ; vecadd_pipelined.py:15:20
	s_and_saveexec_b32 s25, s23
	s_cbranch_execnz .LBB0_71
; %bb.62:                               ;   in Loop: Header=BB0_33 Depth=1
	.loc	1 0 20                          ; vecadd_pipelined.py:0:20
	s_or_b32 exec_lo, exec_lo, s25
	.loc	1 15 20                         ; vecadd_pipelined.py:15:20
	s_and_saveexec_b32 s25, s24
	s_cbranch_execnz .LBB0_72
.LBB0_63:                               ;   in Loop: Header=BB0_33 Depth=1
	.loc	1 0 20                          ; vecadd_pipelined.py:0:20
	s_or_b32 exec_lo, exec_lo, s25
	.loc	1 17 39 is_stmt 1               ; vecadd_pipelined.py:17:39
	s_and_saveexec_b32 s25, s16
	s_cbranch_execnz .LBB0_73
.LBB0_64:                               ;   in Loop: Header=BB0_33 Depth=1
	.loc	1 0 39 is_stmt 0                ; vecadd_pipelined.py:0:39
	s_or_b32 exec_lo, exec_lo, s25
	.loc	1 17 39                         ; vecadd_pipelined.py:17:39
	s_and_saveexec_b32 s16, s15
	s_cbranch_execnz .LBB0_74
.LBB0_65:                               ;   in Loop: Header=BB0_33 Depth=1
	.loc	1 0 39                          ; vecadd_pipelined.py:0:39
	s_wait_alu depctr_sa_sdst(0)
	s_or_b32 exec_lo, exec_lo, s16
	.loc	1 17 39                         ; vecadd_pipelined.py:17:39
	s_and_saveexec_b32 s15, s14
	s_cbranch_execnz .LBB0_75
.LBB0_66:                               ;   in Loop: Header=BB0_33 Depth=1
	.loc	1 0 39                          ; vecadd_pipelined.py:0:39
	s_or_b32 exec_lo, exec_lo, s15
	.loc	1 17 39                         ; vecadd_pipelined.py:17:39
	s_and_saveexec_b32 s14, s12
	s_cbranch_execnz .LBB0_76
.LBB0_67:                               ;   in Loop: Header=BB0_33 Depth=1
	.loc	1 0 39                          ; vecadd_pipelined.py:0:39
	s_or_b32 exec_lo, exec_lo, s14
	.loc	1 17 39                         ; vecadd_pipelined.py:17:39
	s_and_saveexec_b32 s12, s9
	s_cbranch_execnz .LBB0_77
.LBB0_68:                               ;   in Loop: Header=BB0_33 Depth=1
	.loc	1 0 39                          ; vecadd_pipelined.py:0:39
	s_or_b32 exec_lo, exec_lo, s12
	.loc	1 17 39                         ; vecadd_pipelined.py:17:39
	s_and_saveexec_b32 s9, s13
	s_cbranch_execnz .LBB0_78
.LBB0_69:                               ;   in Loop: Header=BB0_33 Depth=1
	.loc	1 0 39                          ; vecadd_pipelined.py:0:39
	s_or_b32 exec_lo, exec_lo, s9
	.loc	1 17 39                         ; vecadd_pipelined.py:17:39
	s_and_saveexec_b32 s9, s11
	s_cbranch_execnz .LBB0_79
.LBB0_70:                               ;   in Loop: Header=BB0_33 Depth=1
	.loc	1 0 39                          ; vecadd_pipelined.py:0:39
	s_or_b32 exec_lo, exec_lo, s9
	.loc	1 17 39                         ; vecadd_pipelined.py:17:39
	s_and_saveexec_b32 s9, s10
	s_cbranch_execz .LBB0_32
	s_branch .LBB0_80
.LBB0_71:                               ;   in Loop: Header=BB0_33 Depth=1
	.loc	1 15 28 is_stmt 1               ; vecadd_pipelined.py:15:28
	v_add_co_u32 v47, vcc_lo, s6, v18
	s_wait_alu depctr_va_vcc(0)
	v_add_co_ci_u32_e64 v48, null, s7, v28, vcc_lo
	.loc	1 15 20 is_stmt 0               ; vecadd_pipelined.py:15:20
	global_load_u8 v45, v[47:48], off
	s_or_b32 exec_lo, exec_lo, s25
	s_and_saveexec_b32 s25, s24
	s_cbranch_execz .LBB0_63
.LBB0_72:                               ;   in Loop: Header=BB0_33 Depth=1
	.loc	1 15 28                         ; vecadd_pipelined.py:15:28
	v_add_co_u32 v46, vcc_lo, s6, v21
	s_wait_alu depctr_va_vcc(0)
	v_add_co_ci_u32_e64 v47, null, s7, v29, vcc_lo
	.loc	1 15 20                         ; vecadd_pipelined.py:15:20
	global_load_u8 v46, v[46:47], off
	s_or_b32 exec_lo, exec_lo, s25
	.loc	1 17 39 is_stmt 1               ; vecadd_pipelined.py:17:39
	s_and_saveexec_b32 s25, s16
	s_cbranch_execz .LBB0_64
.LBB0_73:                               ;   in Loop: Header=BB0_33 Depth=1
	.loc	1 18 19                         ; vecadd_pipelined.py:18:19
	v_add_nc_u32_e32 v47, 0xfffff880, v30
	s_wait_loadcnt 0x0
	v_add_nc_u16 v16, v24, v16
	s_delay_alu instid0(VALU_DEP_2) | instskip(SKIP_3) | instid1(VALU_DEP_2)
	v_ashrrev_i32_e32 v48, 31, v47
	s_wait_kmcnt 0x0
	v_add_co_u32 v47, vcc_lo, s0, v47
	s_wait_alu depctr_va_vcc(0)
	v_add_co_ci_u32_e64 v48, null, s1, v48, vcc_lo
	.loc	1 17 39                         ; vecadd_pipelined.py:17:39
	global_store_b8 v[47:48], v16, off
	s_or_b32 exec_lo, exec_lo, s25
	s_and_saveexec_b32 s16, s15
	s_cbranch_execz .LBB0_65
.LBB0_74:                               ;   in Loop: Header=BB0_33 Depth=1
	.loc	1 18 19                         ; vecadd_pipelined.py:18:19
	s_wait_loadcnt 0x0
	v_add_nc_u32_e32 v16, 0xfffff900, v30
	.loc	1 16 21                         ; vecadd_pipelined.py:16:21
	v_add_nc_u16 v11, v23, v11
	s_delay_alu instid0(VALU_DEP_2) | instskip(SKIP_3) | instid1(VALU_DEP_2)
	.loc	1 17 30                         ; vecadd_pipelined.py:17:30
	v_ashrrev_i32_e32 v24, 31, v16
	s_wait_kmcnt 0x0
	v_add_co_u32 v23, vcc_lo, s0, v16
	s_wait_alu depctr_va_vcc(0)
	v_add_co_ci_u32_e64 v24, null, s1, v24, vcc_lo
	.loc	1 17 39 is_stmt 0               ; vecadd_pipelined.py:17:39
	global_store_b8 v[23:24], v11, off
	s_wait_alu depctr_sa_sdst(0)
	s_or_b32 exec_lo, exec_lo, s16
	s_and_saveexec_b32 s15, s14
	s_cbranch_execz .LBB0_66
.LBB0_75:                               ;   in Loop: Header=BB0_33 Depth=1
	.loc	1 18 19 is_stmt 1               ; vecadd_pipelined.py:18:19
	s_wait_loadcnt 0x0
	v_add_nc_u32_e32 v11, 0xfffff980, v30
	.loc	1 16 21                         ; vecadd_pipelined.py:16:21
	v_add_nc_u16 v13, v22, v13
	s_delay_alu instid0(VALU_DEP_2) | instskip(SKIP_3) | instid1(VALU_DEP_2)
	.loc	1 17 30                         ; vecadd_pipelined.py:17:30
	v_ashrrev_i32_e32 v16, 31, v11
	s_wait_kmcnt 0x0
	v_add_co_u32 v22, vcc_lo, s0, v11
	s_wait_alu depctr_va_vcc(0)
	v_add_co_ci_u32_e64 v23, null, s1, v16, vcc_lo
	.loc	1 17 39 is_stmt 0               ; vecadd_pipelined.py:17:39
	global_store_b8 v[22:23], v13, off
	s_or_b32 exec_lo, exec_lo, s15
	s_and_saveexec_b32 s14, s12
	s_cbranch_execz .LBB0_67
.LBB0_76:                               ;   in Loop: Header=BB0_33 Depth=1
	.loc	1 18 19 is_stmt 1               ; vecadd_pipelined.py:18:19
	s_wait_loadcnt 0x0
	v_add_nc_u32_e32 v11, 0xfffffa00, v30
	.loc	1 16 21                         ; vecadd_pipelined.py:16:21
	v_add_nc_u16 v8, v20, v8
	s_delay_alu instid0(VALU_DEP_2) | instskip(SKIP_3) | instid1(VALU_DEP_2)
	.loc	1 17 30                         ; vecadd_pipelined.py:17:30
	v_ashrrev_i32_e32 v13, 31, v11
	s_wait_kmcnt 0x0
	v_add_co_u32 v22, vcc_lo, s0, v11
	s_wait_alu depctr_va_vcc(0)
	v_add_co_ci_u32_e64 v23, null, s1, v13, vcc_lo
	.loc	1 17 39 is_stmt 0               ; vecadd_pipelined.py:17:39
	global_store_b8 v[22:23], v8, off
	s_or_b32 exec_lo, exec_lo, s14
	s_and_saveexec_b32 s12, s9
	s_cbranch_execz .LBB0_68
.LBB0_77:                               ;   in Loop: Header=BB0_33 Depth=1
	.loc	1 18 19 is_stmt 1               ; vecadd_pipelined.py:18:19
	s_wait_loadcnt 0x0
	v_add_nc_u32_e32 v8, 0xfffffa80, v30
	.loc	1 16 21                         ; vecadd_pipelined.py:16:21
	v_add_nc_u16 v13, v19, v7
	s_delay_alu instid0(VALU_DEP_2) | instskip(SKIP_3) | instid1(VALU_DEP_2)
	.loc	1 17 30                         ; vecadd_pipelined.py:17:30
	v_ashrrev_i32_e32 v11, 31, v8
	s_wait_kmcnt 0x0
	v_add_co_u32 v7, vcc_lo, s0, v8
	s_wait_alu depctr_va_vcc(0)
	v_add_co_ci_u32_e64 v8, null, s1, v11, vcc_lo
	.loc	1 17 39 is_stmt 0               ; vecadd_pipelined.py:17:39
	global_store_b8 v[7:8], v13, off
	s_or_b32 exec_lo, exec_lo, s12
	s_and_saveexec_b32 s9, s13
	s_cbranch_execz .LBB0_69
.LBB0_78:                               ;   in Loop: Header=BB0_33 Depth=1
	.loc	1 18 19 is_stmt 1               ; vecadd_pipelined.py:18:19
	s_wait_loadcnt 0x0
	v_add_nc_u32_e32 v7, 0xfffffb00, v30
	.loc	1 16 21                         ; vecadd_pipelined.py:16:21
	v_add_nc_u16 v5, v17, v5
	s_delay_alu instid0(VALU_DEP_2) | instskip(SKIP_3) | instid1(VALU_DEP_2)
	.loc	1 17 30                         ; vecadd_pipelined.py:17:30
	v_ashrrev_i32_e32 v8, 31, v7
	s_wait_kmcnt 0x0
	v_add_co_u32 v7, vcc_lo, s0, v7
	s_wait_alu depctr_va_vcc(0)
	v_add_co_ci_u32_e64 v8, null, s1, v8, vcc_lo
	.loc	1 17 39 is_stmt 0               ; vecadd_pipelined.py:17:39
	global_store_b8 v[7:8], v5, off
	s_or_b32 exec_lo, exec_lo, s9
	s_and_saveexec_b32 s9, s11
	s_cbranch_execz .LBB0_70
.LBB0_79:                               ;   in Loop: Header=BB0_33 Depth=1
	.loc	1 18 19 is_stmt 1               ; vecadd_pipelined.py:18:19
	s_wait_loadcnt 0x0
	v_add_nc_u32_e32 v5, 0xfffffb80, v30
	.loc	1 16 21                         ; vecadd_pipelined.py:16:21
	v_add_nc_u16 v8, v14, v4
	s_delay_alu instid0(VALU_DEP_2) | instskip(SKIP_3) | instid1(VALU_DEP_2)
	.loc	1 17 30                         ; vecadd_pipelined.py:17:30
	v_ashrrev_i32_e32 v7, 31, v5
	s_wait_kmcnt 0x0
	v_add_co_u32 v4, vcc_lo, s0, v5
	s_wait_alu depctr_va_vcc(0)
	v_add_co_ci_u32_e64 v5, null, s1, v7, vcc_lo
	.loc	1 17 39 is_stmt 0               ; vecadd_pipelined.py:17:39
	global_store_b8 v[4:5], v8, off
	s_or_b32 exec_lo, exec_lo, s9
	s_and_saveexec_b32 s9, s10
	s_cbranch_execz .LBB0_32
.LBB0_80:                               ;   in Loop: Header=BB0_33 Depth=1
	.loc	1 18 19 is_stmt 1               ; vecadd_pipelined.py:18:19
	s_wait_loadcnt 0x0
	v_add_nc_u32_e32 v4, 0xfffffc00, v30
	.loc	1 16 21                         ; vecadd_pipelined.py:16:21
	v_add_nc_u16 v2, v10, v2
	s_delay_alu instid0(VALU_DEP_2) | instskip(SKIP_3) | instid1(VALU_DEP_2)
	.loc	1 17 30                         ; vecadd_pipelined.py:17:30
	v_ashrrev_i32_e32 v5, 31, v4
	s_wait_kmcnt 0x0
	v_add_co_u32 v4, vcc_lo, s0, v4
	s_wait_alu depctr_va_vcc(0)
	v_add_co_ci_u32_e64 v5, null, s1, v5, vcc_lo
	.loc	1 17 39 is_stmt 0               ; vecadd_pipelined.py:17:39
	global_store_b8 v[4:5], v2, off
	s_branch .LBB0_32
.LBB0_81:                               ; %Flow
	.loc	1 0 39                          ; vecadd_pipelined.py:0:39
	v_dual_mov_b32 v17, v44 :: v_dual_add_nc_u32 v30, 0xfffffc80, v21
	v_dual_mov_b32 v10, v46 :: v_dual_mov_b32 v19, v43
	v_dual_mov_b32 v14, v45 :: v_dual_mov_b32 v23, v40
	;; [unrolled: 1-line block ×6, first 2 shown]
	v_mov_b32_e32 v4, v38
	v_mov_b32_e32 v8, v33
	;; [unrolled: 1-line block ×3, first 2 shown]
	s_mov_b32 s16, s17
	s_mov_b32 s15, s18
	;; [unrolled: 1-line block ×8, first 2 shown]
	.loc	1 12 37 is_stmt 1               ; vecadd_pipelined.py:12:37
	s_wait_alu depctr_sa_sdst(0)
	s_and_b32 s3, s8, s16
	.loc	1 17 39                         ; vecadd_pipelined.py:17:39
	s_wait_alu depctr_sa_sdst(0)
	s_and_saveexec_b32 s2, s3
	s_cbranch_execz .LBB0_83
.LBB0_82:
	.loc	1 0 39 is_stmt 0                ; vecadd_pipelined.py:0:39
	v_ashrrev_i32_e32 v31, 31, v30
	s_wait_kmcnt 0x0
	v_add_co_u32 v30, vcc_lo, s0, v30
	s_wait_loadcnt 0x0
	v_add_nc_u16 v16, v24, v16
	s_wait_alu depctr_va_vcc(0)
	v_add_co_ci_u32_e64 v31, null, s1, v31, vcc_lo
	.loc	1 17 39                         ; vecadd_pipelined.py:17:39
	global_store_b8 v[30:31], v16, off
.LBB0_83:
	.loc	1 0 39                          ; vecadd_pipelined.py:0:39
	s_wait_alu depctr_sa_sdst(0)
	s_or_b32 exec_lo, exec_lo, s2
	.loc	1 12 37 is_stmt 1               ; vecadd_pipelined.py:12:37
	s_and_b32 s3, s8, s15
	.loc	1 17 39                         ; vecadd_pipelined.py:17:39
	s_wait_alu depctr_sa_sdst(0)
	s_and_saveexec_b32 s2, s3
	s_cbranch_execnz .LBB0_94
; %bb.84:
	.loc	1 0 39 is_stmt 0                ; vecadd_pipelined.py:0:39
	s_wait_alu depctr_sa_sdst(0)
	s_or_b32 exec_lo, exec_lo, s2
	.loc	1 12 37 is_stmt 1               ; vecadd_pipelined.py:12:37
	s_and_b32 s3, s8, s14
	.loc	1 17 39                         ; vecadd_pipelined.py:17:39
	s_wait_alu depctr_sa_sdst(0)
	s_and_saveexec_b32 s2, s3
	s_cbranch_execnz .LBB0_95
.LBB0_85:
	.loc	1 0 39 is_stmt 0                ; vecadd_pipelined.py:0:39
	s_wait_alu depctr_sa_sdst(0)
	s_or_b32 exec_lo, exec_lo, s2
	.loc	1 12 37 is_stmt 1               ; vecadd_pipelined.py:12:37
	s_and_b32 s3, s8, s12
	.loc	1 17 39                         ; vecadd_pipelined.py:17:39
	s_wait_alu depctr_sa_sdst(0)
	s_and_saveexec_b32 s2, s3
	s_cbranch_execnz .LBB0_96
.LBB0_86:
	.loc	1 0 39 is_stmt 0                ; vecadd_pipelined.py:0:39
	s_wait_alu depctr_sa_sdst(0)
	s_or_b32 exec_lo, exec_lo, s2
	.loc	1 12 37 is_stmt 1               ; vecadd_pipelined.py:12:37
	s_and_b32 s3, s8, s9
	.loc	1 17 39                         ; vecadd_pipelined.py:17:39
	s_wait_alu depctr_sa_sdst(0)
	s_and_saveexec_b32 s2, s3
	s_cbranch_execnz .LBB0_97
.LBB0_87:
	.loc	1 0 39 is_stmt 0                ; vecadd_pipelined.py:0:39
	s_wait_alu depctr_sa_sdst(0)
	s_or_b32 exec_lo, exec_lo, s2
	.loc	1 12 37 is_stmt 1               ; vecadd_pipelined.py:12:37
	s_and_b32 s3, s8, s13
	.loc	1 17 39                         ; vecadd_pipelined.py:17:39
	s_wait_alu depctr_sa_sdst(0)
	s_and_saveexec_b32 s2, s3
	s_cbranch_execnz .LBB0_98
.LBB0_88:
	.loc	1 0 39 is_stmt 0                ; vecadd_pipelined.py:0:39
	s_wait_alu depctr_sa_sdst(0)
	s_or_b32 exec_lo, exec_lo, s2
	.loc	1 12 37 is_stmt 1               ; vecadd_pipelined.py:12:37
	s_and_b32 s3, s8, s11
	.loc	1 17 39                         ; vecadd_pipelined.py:17:39
	s_wait_alu depctr_sa_sdst(0)
	s_and_saveexec_b32 s2, s3
	s_cbranch_execnz .LBB0_99
.LBB0_89:
	.loc	1 0 39 is_stmt 0                ; vecadd_pipelined.py:0:39
	s_wait_alu depctr_sa_sdst(0)
	s_or_b32 exec_lo, exec_lo, s2
	.loc	1 12 37 is_stmt 1               ; vecadd_pipelined.py:12:37
	s_and_b32 s2, s8, s10
	.loc	1 17 39                         ; vecadd_pipelined.py:17:39
	s_wait_alu depctr_sa_sdst(0)
	s_and_saveexec_b32 s3, s2
	s_cbranch_execnz .LBB0_100
.LBB0_90:
	.loc	1 12 4                          ; vecadd_pipelined.py:12:4
	s_endpgm
.LBB0_91:
	.loc	1 15 20                         ; vecadd_pipelined.py:15:20
	global_load_u8 v14, v[0:1], off offset:768
	s_wait_alu depctr_sa_sdst(0)
	s_or_b32 exec_lo, exec_lo, s19
	s_load_b64 s[0:1], s[0:1], 0x10
	s_and_saveexec_b32 s19, s26
	s_cbranch_execz .LBB0_30
.LBB0_92:
	global_load_u8 v10, v[0:1], off offset:896
	s_wait_alu depctr_sa_sdst(0)
	s_or_b32 exec_lo, exec_lo, s19
	.loc	1 12 37                         ; vecadd_pipelined.py:12:37
	s_add_co_i32 s3, s3, -1
	s_wait_alu depctr_sa_sdst(0)
	s_cmp_lt_i32 s3, 1
	s_cbranch_scc0 .LBB0_31
.LBB0_93:
	.loc	1 0 0 is_stmt 0                 ; vecadd_pipelined.py:0
	v_ashrrev_i32_e32 v0, 31, v3
	v_ashrrev_i32_e32 v1, 31, v6
	;; [unrolled: 1-line block ×7, first 2 shown]
	.loc	1 12 37                         ; vecadd_pipelined.py:12:37
	s_and_b32 s3, s8, s16
	.loc	1 17 39 is_stmt 1               ; vecadd_pipelined.py:17:39
	s_wait_alu depctr_sa_sdst(0)
	s_and_saveexec_b32 s2, s3
	s_cbranch_execnz .LBB0_82
	s_branch .LBB0_83
.LBB0_94:
	.loc	1 16 21                         ; vecadd_pipelined.py:16:21
	s_wait_loadcnt 0x0
	v_add_nc_u16 v11, v23, v11
	.loc	1 17 30                         ; vecadd_pipelined.py:17:30
	s_wait_kmcnt 0x0
	v_add_co_u32 v23, vcc_lo, s0, v3
	s_wait_alu depctr_va_vcc(0)
	v_add_co_ci_u32_e64 v24, null, s1, v0, vcc_lo
	.loc	1 17 39 is_stmt 0               ; vecadd_pipelined.py:17:39
	global_store_b8 v[23:24], v11, off
	s_wait_alu depctr_sa_sdst(0)
	s_or_b32 exec_lo, exec_lo, s2
	.loc	1 12 37 is_stmt 1               ; vecadd_pipelined.py:12:37
	s_and_b32 s3, s8, s14
	.loc	1 17 39                         ; vecadd_pipelined.py:17:39
	s_wait_alu depctr_sa_sdst(0)
	s_and_saveexec_b32 s2, s3
	s_cbranch_execz .LBB0_85
.LBB0_95:
	.loc	1 17 30 is_stmt 0               ; vecadd_pipelined.py:17:30
	s_wait_kmcnt 0x0
	v_add_co_u32 v0, vcc_lo, s0, v6
	.loc	1 16 21 is_stmt 1               ; vecadd_pipelined.py:16:21
	s_wait_loadcnt 0x0
	v_add_nc_u16 v3, v22, v13
	.loc	1 17 30                         ; vecadd_pipelined.py:17:30
	s_wait_alu depctr_va_vcc(0)
	v_add_co_ci_u32_e64 v1, null, s1, v1, vcc_lo
	.loc	1 17 39 is_stmt 0               ; vecadd_pipelined.py:17:39
	global_store_b8 v[0:1], v3, off
	s_wait_alu depctr_sa_sdst(0)
	s_or_b32 exec_lo, exec_lo, s2
	.loc	1 12 37 is_stmt 1               ; vecadd_pipelined.py:12:37
	s_and_b32 s3, s8, s12
	.loc	1 17 39                         ; vecadd_pipelined.py:17:39
	s_wait_alu depctr_sa_sdst(0)
	s_and_saveexec_b32 s2, s3
	s_cbranch_execz .LBB0_86
.LBB0_96:
	.loc	1 17 30 is_stmt 0               ; vecadd_pipelined.py:17:30
	s_wait_kmcnt 0x0
	v_add_co_u32 v0, vcc_lo, s0, v9
	.loc	1 16 21 is_stmt 1               ; vecadd_pipelined.py:16:21
	s_wait_loadcnt 0x0
	v_add_nc_u16 v3, v20, v8
	.loc	1 17 30                         ; vecadd_pipelined.py:17:30
	s_wait_alu depctr_va_vcc(0)
	v_add_co_ci_u32_e64 v1, null, s1, v25, vcc_lo
	.loc	1 17 39 is_stmt 0               ; vecadd_pipelined.py:17:39
	global_store_b8 v[0:1], v3, off
	s_wait_alu depctr_sa_sdst(0)
	s_or_b32 exec_lo, exec_lo, s2
	.loc	1 12 37 is_stmt 1               ; vecadd_pipelined.py:12:37
	s_and_b32 s3, s8, s9
	.loc	1 17 39                         ; vecadd_pipelined.py:17:39
	s_wait_alu depctr_sa_sdst(0)
	s_and_saveexec_b32 s2, s3
	s_cbranch_execz .LBB0_87
.LBB0_97:
	.loc	1 17 30 is_stmt 0               ; vecadd_pipelined.py:17:30
	s_wait_kmcnt 0x0
	v_add_co_u32 v0, vcc_lo, s0, v12
	.loc	1 16 21 is_stmt 1               ; vecadd_pipelined.py:16:21
	s_wait_loadcnt 0x0
	v_add_nc_u16 v3, v19, v7
	.loc	1 17 30                         ; vecadd_pipelined.py:17:30
	s_wait_alu depctr_va_vcc(0)
	v_add_co_ci_u32_e64 v1, null, s1, v26, vcc_lo
	.loc	1 17 39 is_stmt 0               ; vecadd_pipelined.py:17:39
	global_store_b8 v[0:1], v3, off
	s_wait_alu depctr_sa_sdst(0)
	s_or_b32 exec_lo, exec_lo, s2
	.loc	1 12 37 is_stmt 1               ; vecadd_pipelined.py:12:37
	s_and_b32 s3, s8, s13
	.loc	1 17 39                         ; vecadd_pipelined.py:17:39
	s_wait_alu depctr_sa_sdst(0)
	s_and_saveexec_b32 s2, s3
	s_cbranch_execz .LBB0_88
.LBB0_98:
	.loc	1 17 30 is_stmt 0               ; vecadd_pipelined.py:17:30
	s_wait_kmcnt 0x0
	v_add_co_u32 v0, vcc_lo, s0, v15
	.loc	1 16 21 is_stmt 1               ; vecadd_pipelined.py:16:21
	s_wait_loadcnt 0x0
	v_add_nc_u16 v3, v17, v5
	.loc	1 17 30                         ; vecadd_pipelined.py:17:30
	s_wait_alu depctr_va_vcc(0)
	v_add_co_ci_u32_e64 v1, null, s1, v27, vcc_lo
	.loc	1 17 39 is_stmt 0               ; vecadd_pipelined.py:17:39
	global_store_b8 v[0:1], v3, off
	s_wait_alu depctr_sa_sdst(0)
	s_or_b32 exec_lo, exec_lo, s2
	.loc	1 12 37 is_stmt 1               ; vecadd_pipelined.py:12:37
	s_and_b32 s3, s8, s11
	.loc	1 17 39                         ; vecadd_pipelined.py:17:39
	s_wait_alu depctr_sa_sdst(0)
	s_and_saveexec_b32 s2, s3
	s_cbranch_execz .LBB0_89
.LBB0_99:
	.loc	1 17 30 is_stmt 0               ; vecadd_pipelined.py:17:30
	s_wait_kmcnt 0x0
	v_add_co_u32 v0, vcc_lo, s0, v18
	.loc	1 16 21 is_stmt 1               ; vecadd_pipelined.py:16:21
	s_wait_loadcnt 0x0
	v_add_nc_u16 v3, v14, v4
	.loc	1 17 30                         ; vecadd_pipelined.py:17:30
	s_wait_alu depctr_va_vcc(0)
	v_add_co_ci_u32_e64 v1, null, s1, v28, vcc_lo
	.loc	1 17 39 is_stmt 0               ; vecadd_pipelined.py:17:39
	global_store_b8 v[0:1], v3, off
	s_wait_alu depctr_sa_sdst(0)
	s_or_b32 exec_lo, exec_lo, s2
	.loc	1 12 37 is_stmt 1               ; vecadd_pipelined.py:12:37
	s_and_b32 s2, s8, s10
	.loc	1 17 39                         ; vecadd_pipelined.py:17:39
	s_wait_alu depctr_sa_sdst(0)
	s_and_saveexec_b32 s3, s2
	s_cbranch_execz .LBB0_90
.LBB0_100:
	.loc	1 17 30 is_stmt 0               ; vecadd_pipelined.py:17:30
	s_wait_kmcnt 0x0
	v_add_co_u32 v0, vcc_lo, s0, v21
	.loc	1 16 21 is_stmt 1               ; vecadd_pipelined.py:16:21
	s_wait_loadcnt 0x0
	v_add_nc_u16 v2, v10, v2
	.loc	1 17 30                         ; vecadd_pipelined.py:17:30
	s_wait_alu depctr_va_vcc(0)
	v_add_co_ci_u32_e64 v1, null, s1, v29, vcc_lo
	.loc	1 17 39 is_stmt 0               ; vecadd_pipelined.py:17:39
	global_store_b8 v[0:1], v2, off
	.loc	1 12 4 is_stmt 1                ; vecadd_pipelined.py:12:4
	s_endpgm
.Ltmp1:
	.section	.rodata,"a",@progbits
	.p2align	6, 0x0
	.amdhsa_kernel vecadd_kernel
		.amdhsa_group_segment_fixed_size 0
		.amdhsa_private_segment_fixed_size 0
		.amdhsa_kernarg_size 48
		.amdhsa_user_sgpr_count 2
		.amdhsa_user_sgpr_dispatch_ptr 0
		.amdhsa_user_sgpr_queue_ptr 0
		.amdhsa_user_sgpr_kernarg_segment_ptr 1
		.amdhsa_user_sgpr_dispatch_id 0
		.amdhsa_user_sgpr_private_segment_size 0
		.amdhsa_wavefront_size32 1
		.amdhsa_uses_dynamic_stack 0
		.amdhsa_enable_private_segment 0
		.amdhsa_system_sgpr_workgroup_id_x 1
		.amdhsa_system_sgpr_workgroup_id_y 1
		.amdhsa_system_sgpr_workgroup_id_z 1
		.amdhsa_system_sgpr_workgroup_info 0
		.amdhsa_system_vgpr_workitem_id 0
		.amdhsa_next_free_vgpr 49
		.amdhsa_next_free_sgpr 28
		.amdhsa_reserve_vcc 1
		.amdhsa_float_round_mode_32 0
		.amdhsa_float_round_mode_16_64 0
		.amdhsa_float_denorm_mode_32 3
		.amdhsa_float_denorm_mode_16_64 3
		.amdhsa_fp16_overflow 0
		.amdhsa_workgroup_processor_mode 1
		.amdhsa_memory_ordered 1
		.amdhsa_forward_progress 1
		.amdhsa_inst_pref_size 29
		.amdhsa_round_robin_scheduling 0
		.amdhsa_exception_fp_ieee_invalid_op 0
		.amdhsa_exception_fp_denorm_src 0
		.amdhsa_exception_fp_ieee_div_zero 0
		.amdhsa_exception_fp_ieee_overflow 0
		.amdhsa_exception_fp_ieee_underflow 0
		.amdhsa_exception_fp_ieee_inexact 0
		.amdhsa_exception_int_div_zero 0
	.end_amdhsa_kernel
	.text
.Lfunc_end0:
	.size	vecadd_kernel, .Lfunc_end0-vecadd_kernel
	.cfi_endproc
                                        ; -- End function
	.set vecadd_kernel.num_vgpr, 49
	.set vecadd_kernel.num_agpr, 0
	.set vecadd_kernel.numbered_sgpr, 28
	.set vecadd_kernel.num_named_barrier, 0
	.set vecadd_kernel.private_seg_size, 0
	.set vecadd_kernel.uses_vcc, 1
	.set vecadd_kernel.uses_flat_scratch, 0
	.set vecadd_kernel.has_dyn_sized_stack, 0
	.set vecadd_kernel.has_recursion, 0
	.set vecadd_kernel.has_indirect_call, 0
	.section	.AMDGPU.csdata,"",@progbits
; Kernel info:
; codeLenInByte = 3588
; TotalNumSgprs: 30
; NumVgprs: 49
; ScratchSize: 0
; MemoryBound: 0
; FloatMode: 240
; IeeeMode: 1
; LDSByteSize: 0 bytes/workgroup (compile time only)
; SGPRBlocks: 0
; VGPRBlocks: 6
; NumSGPRsForWavesPerEU: 30
; NumVGPRsForWavesPerEU: 49
; Occupancy: 16
; WaveLimiterHint : 0
; COMPUTE_PGM_RSRC2:SCRATCH_EN: 0
; COMPUTE_PGM_RSRC2:USER_SGPR: 2
; COMPUTE_PGM_RSRC2:TRAP_HANDLER: 0
; COMPUTE_PGM_RSRC2:TGID_X_EN: 1
; COMPUTE_PGM_RSRC2:TGID_Y_EN: 1
; COMPUTE_PGM_RSRC2:TGID_Z_EN: 1
; COMPUTE_PGM_RSRC2:TIDIG_COMP_CNT: 0
	.text
	.p2alignl 7, 3214868480
	.fill 96, 4, 3214868480
	.section	.AMDGPU.gpr_maximums,"",@progbits
	.set amdgpu.max_num_vgpr, 0
	.set amdgpu.max_num_agpr, 0
	.set amdgpu.max_num_sgpr, 0
	.set amdgpu.max_num_named_barrier, 0
	.text
	.section	.debug_abbrev,"",@progbits
	.byte	1                               ; Abbreviation Code
	.byte	17                              ; DW_TAG_compile_unit
	.byte	0                               ; DW_CHILDREN_no
	.byte	37                              ; DW_AT_producer
	.byte	14                              ; DW_FORM_strp
	.byte	19                              ; DW_AT_language
	.byte	5                               ; DW_FORM_data2
	.byte	3                               ; DW_AT_name
	.byte	14                              ; DW_FORM_strp
	.byte	16                              ; DW_AT_stmt_list
	.byte	23                              ; DW_FORM_sec_offset
	.byte	27                              ; DW_AT_comp_dir
	.byte	14                              ; DW_FORM_strp
	.byte	17                              ; DW_AT_low_pc
	.byte	1                               ; DW_FORM_addr
	.byte	18                              ; DW_AT_high_pc
	.byte	6                               ; DW_FORM_data4
	.byte	0                               ; EOM(1)
	.byte	0                               ; EOM(2)
	;; [unrolled: 1-line block ×3, first 2 shown]
	.section	.debug_info,"",@progbits
.Lcu_begin0:
	.long	.Ldebug_info_end0-.Ldebug_info_start0 ; Length of Unit
.Ldebug_info_start0:
	.short	4                               ; DWARF version number
	.long	.debug_abbrev                   ; Offset Into Abbrev. Section
	.byte	8                               ; Address Size (in bytes)
	.byte	1                               ; Abbrev [1] 0xb:0x1f DW_TAG_compile_unit
	.long	.Linfo_string0                  ; DW_AT_producer
	.short	2                               ; DW_AT_language
	.long	.Linfo_string1                  ; DW_AT_name
	.long	.Lline_table_start0             ; DW_AT_stmt_list
	.long	.Linfo_string2                  ; DW_AT_comp_dir
	.quad	.Lfunc_begin0                   ; DW_AT_low_pc
	.long	.Lfunc_end0-.Lfunc_begin0       ; DW_AT_high_pc
.Ldebug_info_end0:
	.section	.debug_str,"MS",@progbits,1
.Linfo_string0:
	.asciz	"triton"                        ; string offset=0
.Linfo_string1:
	.asciz	"vecadd_pipelined.py"           ; string offset=7
.Linfo_string2:
	.asciz	"/root/src/amdgpu-assembly/repos/triton-lang__triton-aot" ; string offset=27
	.section	".note.GNU-stack","",@progbits
	.amdgpu_metadata
---
amdhsa.kernels:
  - .args:
      - .address_space:  global
        .offset:         0
        .size:           8
        .value_kind:     global_buffer
      - .address_space:  global
        .offset:         8
        .size:           8
        .value_kind:     global_buffer
      - .address_space:  global
        .offset:         16
        .size:           8
        .value_kind:     global_buffer
      - .offset:         24
        .size:           4
        .value_kind:     by_value
      - .offset:         28
        .size:           4
        .value_kind:     by_value
      - .address_space:  global
        .offset:         32
        .size:           8
        .value_kind:     global_buffer
      - .address_space:  global
        .offset:         40
        .size:           8
        .value_kind:     global_buffer
    .group_segment_fixed_size: 0
    .kernarg_segment_align: 8
    .kernarg_segment_size: 48
    .max_flat_workgroup_size: 128
    .name:           vecadd_kernel
    .private_segment_fixed_size: 0
    .sgpr_count:     30
    .sgpr_spill_count: 0
    .symbol:         vecadd_kernel.kd
    .uniform_work_group_size: 1
    .uses_dynamic_stack: false
    .vgpr_count:     49
    .vgpr_spill_count: 0
    .wavefront_size: 32
    .workgroup_processor_mode: 1
amdhsa.target:   amdgcn-amd-amdhsa--gfx1201
amdhsa.version:
  - 1
  - 2
...

	.end_amdgpu_metadata
	.section	.debug_line,"",@progbits
.Lline_table_start0:
